;; amdgpu-corpus repo=zjin-lcf/HeCBench kind=compiled arch=gfx1100 opt=O3
	.text
	.amdgcn_target "amdgcn-amd-amdhsa--gfx1100"
	.amdhsa_code_object_version 6
	.protected	_Z11MRCGradientiPKiPKfS2_S2_fPfS3_ ; -- Begin function _Z11MRCGradientiPKiPKfS2_S2_fPfS3_
	.globl	_Z11MRCGradientiPKiPKfS2_S2_fPfS3_
	.p2align	8
	.type	_Z11MRCGradientiPKiPKfS2_S2_fPfS3_,@function
_Z11MRCGradientiPKiPKfS2_S2_fPfS3_:     ; @_Z11MRCGradientiPKiPKfS2_S2_fPfS3_
; %bb.0:
	s_clause 0x1
	s_load_b32 s2, s[0:1], 0x4c
	s_load_b32 s3, s[0:1], 0x0
	s_waitcnt lgkmcnt(0)
	s_and_b32 s2, s2, 0xffff
	s_delay_alu instid0(SALU_CYCLE_1) | instskip(SKIP_1) | instid1(VALU_DEP_1)
	v_mad_u64_u32 v[1:2], null, s15, s2, v[0:1]
	s_mov_b32 s2, exec_lo
	v_cmpx_gt_i32_e64 s3, v1
	s_cbranch_execz .LBB0_6
; %bb.1:
	s_load_b256 s[4:11], s[0:1], 0x8
	v_ashrrev_i32_e32 v2, 31, v1
	s_delay_alu instid0(VALU_DEP_1) | instskip(SKIP_1) | instid1(VALU_DEP_1)
	v_lshlrev_b64 v[0:1], 2, v[1:2]
	s_waitcnt lgkmcnt(0)
	v_add_co_u32 v2, vcc_lo, s4, v0
	s_delay_alu instid0(VALU_DEP_2)
	v_add_co_ci_u32_e32 v3, vcc_lo, s5, v1, vcc_lo
	v_add_co_u32 v4, vcc_lo, s6, v0
	v_add_co_ci_u32_e32 v5, vcc_lo, s7, v1, vcc_lo
	v_add_co_u32 v6, vcc_lo, s8, v0
	global_load_b32 v2, v[2:3], off
	v_add_co_ci_u32_e32 v7, vcc_lo, s9, v1, vcc_lo
	global_load_b32 v4, v[4:5], off
	global_load_b32 v5, v[6:7], off
	s_clause 0x1
	s_load_b32 s4, s[0:1], 0x28
	s_load_b128 s[0:3], s[0:1], 0x30
	s_waitcnt vmcnt(2)
	v_sub_nc_u32_e32 v3, 0, v2
	s_delay_alu instid0(VALU_DEP_1) | instskip(SKIP_3) | instid1(VALU_DEP_1)
	v_cvt_f32_i32_e32 v3, v3
	s_waitcnt vmcnt(0)
	v_sub_f32_e32 v4, v4, v5
	s_waitcnt lgkmcnt(0)
	v_fma_f32 v4, v4, v3, s4
	s_delay_alu instid0(VALU_DEP_1) | instskip(SKIP_1) | instid1(SALU_CYCLE_1)
	v_cmp_ngt_f32_e32 vcc_lo, 0, v4
                                        ; implicit-def: $vgpr4
	s_and_saveexec_b32 s4, vcc_lo
	s_xor_b32 s4, exec_lo, s4
	s_cbranch_execz .LBB0_3
; %bb.2:
	v_add_co_u32 v4, vcc_lo, s10, v0
	v_add_co_ci_u32_e32 v5, vcc_lo, s11, v1, vcc_lo
	global_load_b32 v4, v[4:5], off
	v_cvt_f32_i32_e32 v5, v2
	v_add_co_u32 v2, vcc_lo, s0, v0
	s_waitcnt vmcnt(0)
	v_mul_f32_e32 v6, v4, v3
	v_add_co_ci_u32_e32 v3, vcc_lo, s1, v1, vcc_lo
	v_mul_f32_e32 v4, v4, v5
	global_store_b32 v[2:3], v6, off
.LBB0_3:
	s_or_saveexec_b32 s4, s4
	v_dual_mov_b32 v2, s2 :: v_dual_mov_b32 v3, s3
	s_xor_b32 exec_lo, exec_lo, s4
	s_cbranch_execz .LBB0_5
; %bb.4:
	v_add_co_u32 v5, vcc_lo, s2, v0
	v_dual_mov_b32 v4, 0 :: v_dual_mov_b32 v3, s1
	v_add_co_ci_u32_e32 v6, vcc_lo, s3, v1, vcc_lo
	v_mov_b32_e32 v2, s0
	global_store_b32 v[5:6], v4, off
.LBB0_5:
	s_or_b32 exec_lo, exec_lo, s4
	s_delay_alu instid0(VALU_DEP_1)
	v_add_co_u32 v0, vcc_lo, v2, v0
	v_add_co_ci_u32_e32 v1, vcc_lo, v3, v1, vcc_lo
	global_store_b32 v[0:1], v4, off
.LBB0_6:
	s_nop 0
	s_sendmsg sendmsg(MSG_DEALLOC_VGPRS)
	s_endpgm
	.section	.rodata,"a",@progbits
	.p2align	6, 0x0
	.amdhsa_kernel _Z11MRCGradientiPKiPKfS2_S2_fPfS3_
		.amdhsa_group_segment_fixed_size 0
		.amdhsa_private_segment_fixed_size 0
		.amdhsa_kernarg_size 320
		.amdhsa_user_sgpr_count 15
		.amdhsa_user_sgpr_dispatch_ptr 0
		.amdhsa_user_sgpr_queue_ptr 0
		.amdhsa_user_sgpr_kernarg_segment_ptr 1
		.amdhsa_user_sgpr_dispatch_id 0
		.amdhsa_user_sgpr_private_segment_size 0
		.amdhsa_wavefront_size32 1
		.amdhsa_uses_dynamic_stack 0
		.amdhsa_enable_private_segment 0
		.amdhsa_system_sgpr_workgroup_id_x 1
		.amdhsa_system_sgpr_workgroup_id_y 0
		.amdhsa_system_sgpr_workgroup_id_z 0
		.amdhsa_system_sgpr_workgroup_info 0
		.amdhsa_system_vgpr_workitem_id 0
		.amdhsa_next_free_vgpr 8
		.amdhsa_next_free_sgpr 16
		.amdhsa_reserve_vcc 1
		.amdhsa_float_round_mode_32 0
		.amdhsa_float_round_mode_16_64 0
		.amdhsa_float_denorm_mode_32 3
		.amdhsa_float_denorm_mode_16_64 3
		.amdhsa_dx10_clamp 1
		.amdhsa_ieee_mode 1
		.amdhsa_fp16_overflow 0
		.amdhsa_workgroup_processor_mode 1
		.amdhsa_memory_ordered 1
		.amdhsa_forward_progress 0
		.amdhsa_shared_vgpr_count 0
		.amdhsa_exception_fp_ieee_invalid_op 0
		.amdhsa_exception_fp_denorm_src 0
		.amdhsa_exception_fp_ieee_div_zero 0
		.amdhsa_exception_fp_ieee_overflow 0
		.amdhsa_exception_fp_ieee_underflow 0
		.amdhsa_exception_fp_ieee_inexact 0
		.amdhsa_exception_int_div_zero 0
	.end_amdhsa_kernel
	.text
.Lfunc_end0:
	.size	_Z11MRCGradientiPKiPKfS2_S2_fPfS3_, .Lfunc_end0-_Z11MRCGradientiPKiPKfS2_S2_fPfS3_
                                        ; -- End function
	.section	.AMDGPU.csdata,"",@progbits
; Kernel info:
; codeLenInByte = 376
; NumSgprs: 18
; NumVgprs: 8
; ScratchSize: 0
; MemoryBound: 0
; FloatMode: 240
; IeeeMode: 1
; LDSByteSize: 0 bytes/workgroup (compile time only)
; SGPRBlocks: 2
; VGPRBlocks: 0
; NumSGPRsForWavesPerEU: 18
; NumVGPRsForWavesPerEU: 8
; Occupancy: 16
; WaveLimiterHint : 0
; COMPUTE_PGM_RSRC2:SCRATCH_EN: 0
; COMPUTE_PGM_RSRC2:USER_SGPR: 15
; COMPUTE_PGM_RSRC2:TRAP_HANDLER: 0
; COMPUTE_PGM_RSRC2:TGID_X_EN: 1
; COMPUTE_PGM_RSRC2:TGID_Y_EN: 0
; COMPUTE_PGM_RSRC2:TGID_Z_EN: 0
; COMPUTE_PGM_RSRC2:TIDIG_COMP_CNT: 0
	.text
	.protected	_Z12MRCGradient2iPKiPKfS2_S2_fPfS3_ ; -- Begin function _Z12MRCGradient2iPKiPKfS2_S2_fPfS3_
	.globl	_Z12MRCGradient2iPKiPKfS2_S2_fPfS3_
	.p2align	8
	.type	_Z12MRCGradient2iPKiPKfS2_S2_fPfS3_,@function
_Z12MRCGradient2iPKiPKfS2_S2_fPfS3_:    ; @_Z12MRCGradient2iPKiPKfS2_S2_fPfS3_
; %bb.0:
	s_clause 0x1
	s_load_b32 s2, s[0:1], 0x4c
	s_load_b32 s3, s[0:1], 0x0
	s_waitcnt lgkmcnt(0)
	s_and_b32 s2, s2, 0xffff
	s_delay_alu instid0(SALU_CYCLE_1) | instskip(SKIP_1) | instid1(VALU_DEP_1)
	v_mad_u64_u32 v[1:2], null, s15, s2, v[0:1]
	s_mov_b32 s2, exec_lo
	v_cmpx_gt_i32_e64 s3, v1
	s_cbranch_execz .LBB1_2
; %bb.1:
	s_load_b256 s[4:11], s[0:1], 0x8
	v_ashrrev_i32_e32 v2, 31, v1
	s_delay_alu instid0(VALU_DEP_1) | instskip(SKIP_1) | instid1(VALU_DEP_1)
	v_lshlrev_b64 v[0:1], 2, v[1:2]
	s_waitcnt lgkmcnt(0)
	v_add_co_u32 v2, vcc_lo, s4, v0
	s_delay_alu instid0(VALU_DEP_2)
	v_add_co_ci_u32_e32 v3, vcc_lo, s5, v1, vcc_lo
	v_add_co_u32 v4, vcc_lo, s6, v0
	v_add_co_ci_u32_e32 v5, vcc_lo, s7, v1, vcc_lo
	v_add_co_u32 v6, vcc_lo, s8, v0
	v_add_co_ci_u32_e32 v7, vcc_lo, s9, v1, vcc_lo
	global_load_b32 v8, v[2:3], off
	global_load_b32 v4, v[4:5], off
	;; [unrolled: 1-line block ×3, first 2 shown]
	v_add_co_u32 v2, vcc_lo, s10, v0
	v_add_co_ci_u32_e32 v3, vcc_lo, s11, v1, vcc_lo
	global_load_b32 v2, v[2:3], off
	s_clause 0x1
	s_load_b32 s4, s[0:1], 0x28
	s_load_b128 s[0:3], s[0:1], 0x30
	s_waitcnt vmcnt(3)
	v_cvt_f32_i32_e32 v3, v8
	s_waitcnt vmcnt(1)
	v_sub_f32_e32 v4, v4, v5
	s_delay_alu instid0(VALU_DEP_1)
	v_mul_f32_e32 v4, v4, v3
	s_waitcnt vmcnt(0)
	v_mul_f32_e64 v5, v2, -v3
	v_mul_f32_e32 v6, v2, v3
	s_waitcnt lgkmcnt(0)
	v_cmp_lt_f32_e32 vcc_lo, s4, v4
	v_add_co_u32 v2, s0, s0, v0
	s_delay_alu instid0(VALU_DEP_1)
	v_add_co_ci_u32_e64 v3, s0, s1, v1, s0
	v_cndmask_b32_e64 v4, v5, 0, vcc_lo
	v_cndmask_b32_e64 v5, v6, 0, vcc_lo
	v_add_co_u32 v0, vcc_lo, s2, v0
	v_add_co_ci_u32_e32 v1, vcc_lo, s3, v1, vcc_lo
	global_store_b32 v[2:3], v4, off
	global_store_b32 v[0:1], v5, off
.LBB1_2:
	s_nop 0
	s_sendmsg sendmsg(MSG_DEALLOC_VGPRS)
	s_endpgm
	.section	.rodata,"a",@progbits
	.p2align	6, 0x0
	.amdhsa_kernel _Z12MRCGradient2iPKiPKfS2_S2_fPfS3_
		.amdhsa_group_segment_fixed_size 0
		.amdhsa_private_segment_fixed_size 0
		.amdhsa_kernarg_size 320
		.amdhsa_user_sgpr_count 15
		.amdhsa_user_sgpr_dispatch_ptr 0
		.amdhsa_user_sgpr_queue_ptr 0
		.amdhsa_user_sgpr_kernarg_segment_ptr 1
		.amdhsa_user_sgpr_dispatch_id 0
		.amdhsa_user_sgpr_private_segment_size 0
		.amdhsa_wavefront_size32 1
		.amdhsa_uses_dynamic_stack 0
		.amdhsa_enable_private_segment 0
		.amdhsa_system_sgpr_workgroup_id_x 1
		.amdhsa_system_sgpr_workgroup_id_y 0
		.amdhsa_system_sgpr_workgroup_id_z 0
		.amdhsa_system_sgpr_workgroup_info 0
		.amdhsa_system_vgpr_workitem_id 0
		.amdhsa_next_free_vgpr 9
		.amdhsa_next_free_sgpr 16
		.amdhsa_reserve_vcc 1
		.amdhsa_float_round_mode_32 0
		.amdhsa_float_round_mode_16_64 0
		.amdhsa_float_denorm_mode_32 3
		.amdhsa_float_denorm_mode_16_64 3
		.amdhsa_dx10_clamp 1
		.amdhsa_ieee_mode 1
		.amdhsa_fp16_overflow 0
		.amdhsa_workgroup_processor_mode 1
		.amdhsa_memory_ordered 1
		.amdhsa_forward_progress 0
		.amdhsa_shared_vgpr_count 0
		.amdhsa_exception_fp_ieee_invalid_op 0
		.amdhsa_exception_fp_denorm_src 0
		.amdhsa_exception_fp_ieee_div_zero 0
		.amdhsa_exception_fp_ieee_overflow 0
		.amdhsa_exception_fp_ieee_underflow 0
		.amdhsa_exception_fp_ieee_inexact 0
		.amdhsa_exception_int_div_zero 0
	.end_amdhsa_kernel
	.text
.Lfunc_end1:
	.size	_Z12MRCGradient2iPKiPKfS2_S2_fPfS3_, .Lfunc_end1-_Z12MRCGradient2iPKiPKfS2_S2_fPfS3_
                                        ; -- End function
	.section	.AMDGPU.csdata,"",@progbits
; Kernel info:
; codeLenInByte = 316
; NumSgprs: 18
; NumVgprs: 9
; ScratchSize: 0
; MemoryBound: 0
; FloatMode: 240
; IeeeMode: 1
; LDSByteSize: 0 bytes/workgroup (compile time only)
; SGPRBlocks: 2
; VGPRBlocks: 1
; NumSGPRsForWavesPerEU: 18
; NumVGPRsForWavesPerEU: 9
; Occupancy: 16
; WaveLimiterHint : 0
; COMPUTE_PGM_RSRC2:SCRATCH_EN: 0
; COMPUTE_PGM_RSRC2:USER_SGPR: 15
; COMPUTE_PGM_RSRC2:TRAP_HANDLER: 0
; COMPUTE_PGM_RSRC2:TGID_X_EN: 1
; COMPUTE_PGM_RSRC2:TGID_Y_EN: 0
; COMPUTE_PGM_RSRC2:TGID_Z_EN: 0
; COMPUTE_PGM_RSRC2:TIDIG_COMP_CNT: 0
	.text
	.protected	_Z12MRCGradient3iPKiPKfS2_S2_fPfS3_ ; -- Begin function _Z12MRCGradient3iPKiPKfS2_S2_fPfS3_
	.globl	_Z12MRCGradient3iPKiPKfS2_S2_fPfS3_
	.p2align	8
	.type	_Z12MRCGradient3iPKiPKfS2_S2_fPfS3_,@function
_Z12MRCGradient3iPKiPKfS2_S2_fPfS3_:    ; @_Z12MRCGradient3iPKiPKfS2_S2_fPfS3_
; %bb.0:
	s_clause 0x4
	s_load_b32 s2, s[0:1], 0x4c
	s_load_b32 s3, s[0:1], 0x0
	;; [unrolled: 1-line block ×3, first 2 shown]
	s_load_b128 s[16:19], s[0:1], 0x30
	s_load_b256 s[4:11], s[0:1], 0x8
	s_waitcnt lgkmcnt(0)
	s_and_b32 s13, s2, 0xffff
	s_ashr_i32 s0, s3, 31
	v_mad_u64_u32 v[1:2], null, s15, s13, v[0:1]
	s_lshr_b32 s0, s0, 30
	s_mov_b32 s15, exec_lo
	s_add_i32 s0, s3, s0
	s_delay_alu instid0(SALU_CYCLE_1)
	s_ashr_i32 s14, s0, 2
	s_delay_alu instid0(VALU_DEP_1) | instid1(SALU_CYCLE_1)
	v_cmpx_gt_i32_e64 s14, v1
	s_cbranch_execz .LBB2_2
; %bb.1:
	v_ashrrev_i32_e32 v2, 31, v1
	s_delay_alu instid0(VALU_DEP_1) | instskip(NEXT) | instid1(VALU_DEP_1)
	v_lshlrev_b64 v[18:19], 4, v[1:2]
	v_add_co_u32 v2, vcc_lo, s4, v18
	s_delay_alu instid0(VALU_DEP_2)
	v_add_co_ci_u32_e32 v3, vcc_lo, s5, v19, vcc_lo
	v_add_co_u32 v6, vcc_lo, s6, v18
	v_add_co_ci_u32_e32 v7, vcc_lo, s7, v19, vcc_lo
	v_add_co_u32 v10, vcc_lo, s8, v18
	v_add_co_ci_u32_e32 v11, vcc_lo, s9, v19, vcc_lo
	global_load_b128 v[2:5], v[2:3], off
	global_load_b128 v[6:9], v[6:7], off
	;; [unrolled: 1-line block ×3, first 2 shown]
	v_add_co_u32 v14, vcc_lo, s10, v18
	v_add_co_ci_u32_e32 v15, vcc_lo, s11, v19, vcc_lo
	global_load_b128 v[14:17], v[14:15], off
	s_waitcnt vmcnt(3)
	v_cvt_f32_i32_e32 v0, v2
	v_cvt_f32_i32_e32 v2, v3
	v_cvt_f32_i32_e32 v3, v4
	v_cvt_f32_i32_e32 v4, v5
	s_waitcnt vmcnt(1)
	v_dual_sub_f32 v5, v6, v10 :: v_dual_sub_f32 v6, v7, v11
	v_dual_sub_f32 v7, v8, v12 :: v_dual_sub_f32 v8, v9, v13
	v_add_co_u32 v10, vcc_lo, s16, v18
	s_delay_alu instid0(VALU_DEP_3) | instskip(NEXT) | instid1(VALU_DEP_4)
	v_fma_f32 v5, -v0, v5, s12
	v_fma_f32 v6, -v2, v6, s12
	s_delay_alu instid0(VALU_DEP_4)
	v_fma_f32 v7, -v3, v7, s12
	v_fma_f32 v8, -v4, v8, s12
	v_add_co_ci_u32_e32 v11, vcc_lo, s17, v19, vcc_lo
	s_waitcnt vmcnt(0)
	v_mul_f32_e64 v9, v14, -v0
	v_dual_mul_f32 v0, v14, v0 :: v_dual_mul_f32 v13, v15, v2
	v_mul_f32_e64 v12, v15, -v2
	v_cmp_gt_f32_e32 vcc_lo, 0, v5
	v_cmp_gt_f32_e64 s0, 0, v6
	v_mul_f32_e64 v14, v16, -v3
	v_mul_f32_e32 v15, v16, v3
	v_mul_f32_e64 v16, v17, -v4
	v_cmp_gt_f32_e64 s1, 0, v7
	v_cmp_gt_f32_e64 s2, 0, v8
	v_mul_f32_e32 v17, v17, v4
	v_cndmask_b32_e64 v2, v9, 0, vcc_lo
	v_cndmask_b32_e64 v3, v12, 0, s0
	v_cndmask_b32_e64 v6, v0, 0, vcc_lo
	v_add_co_u32 v12, vcc_lo, s18, v18
	v_cndmask_b32_e64 v4, v14, 0, s1
	v_cndmask_b32_e64 v5, v16, 0, s2
	;; [unrolled: 1-line block ×5, first 2 shown]
	v_add_co_ci_u32_e32 v13, vcc_lo, s19, v19, vcc_lo
	global_store_b128 v[10:11], v[2:5], off
	global_store_b128 v[12:13], v[6:9], off
.LBB2_2:
	s_or_b32 exec_lo, exec_lo, s15
	v_lshl_add_u32 v0, s14, 2, v1
	s_mov_b32 s0, exec_lo
	s_delay_alu instid0(VALU_DEP_1)
	v_cmpx_gt_i32_e64 s3, v0
	s_cbranch_execz .LBB2_5
; %bb.3:
	s_mov_b32 s2, 0
.LBB2_4:                                ; =>This Inner Loop Header: Depth=1
	v_ashrrev_i32_e32 v1, 31, v0
	s_delay_alu instid0(VALU_DEP_1) | instskip(SKIP_1) | instid1(VALU_DEP_2)
	v_lshlrev_b64 v[1:2], 2, v[0:1]
	v_add_nc_u32_e32 v0, s13, v0
	v_add_co_u32 v3, vcc_lo, s4, v1
	s_delay_alu instid0(VALU_DEP_3)
	v_add_co_ci_u32_e32 v4, vcc_lo, s5, v2, vcc_lo
	v_add_co_u32 v5, vcc_lo, s6, v1
	v_add_co_ci_u32_e32 v6, vcc_lo, s7, v2, vcc_lo
	v_add_co_u32 v7, vcc_lo, s8, v1
	v_add_co_ci_u32_e32 v8, vcc_lo, s9, v2, vcc_lo
	global_load_b32 v9, v[3:4], off
	global_load_b32 v5, v[5:6], off
	;; [unrolled: 1-line block ×3, first 2 shown]
	v_add_co_u32 v3, vcc_lo, s10, v1
	v_add_co_ci_u32_e32 v4, vcc_lo, s11, v2, vcc_lo
	v_cmp_le_i32_e32 vcc_lo, s3, v0
	global_load_b32 v3, v[3:4], off
	s_or_b32 s2, vcc_lo, s2
	s_waitcnt vmcnt(3)
	v_cvt_f32_i32_e32 v4, v9
	s_waitcnt vmcnt(1)
	v_sub_f32_e32 v5, v5, v6
	s_delay_alu instid0(VALU_DEP_1) | instskip(SKIP_3) | instid1(VALU_DEP_3)
	v_mul_f32_e32 v5, v5, v4
	s_waitcnt vmcnt(0)
	v_mul_f32_e64 v6, v3, -v4
	v_mul_f32_e32 v7, v3, v4
	v_cmp_lt_f32_e64 s0, s12, v5
	v_add_co_u32 v3, s1, s16, v1
	s_delay_alu instid0(VALU_DEP_1) | instskip(NEXT) | instid1(VALU_DEP_3)
	v_add_co_ci_u32_e64 v4, s1, s17, v2, s1
	v_cndmask_b32_e64 v5, v6, 0, s0
	v_cndmask_b32_e64 v6, v7, 0, s0
	v_add_co_u32 v1, s0, s18, v1
	s_delay_alu instid0(VALU_DEP_1)
	v_add_co_ci_u32_e64 v2, s0, s19, v2, s0
	global_store_b32 v[3:4], v5, off
	global_store_b32 v[1:2], v6, off
	s_and_not1_b32 exec_lo, exec_lo, s2
	s_cbranch_execnz .LBB2_4
.LBB2_5:
	s_nop 0
	s_sendmsg sendmsg(MSG_DEALLOC_VGPRS)
	s_endpgm
	.section	.rodata,"a",@progbits
	.p2align	6, 0x0
	.amdhsa_kernel _Z12MRCGradient3iPKiPKfS2_S2_fPfS3_
		.amdhsa_group_segment_fixed_size 0
		.amdhsa_private_segment_fixed_size 0
		.amdhsa_kernarg_size 320
		.amdhsa_user_sgpr_count 15
		.amdhsa_user_sgpr_dispatch_ptr 0
		.amdhsa_user_sgpr_queue_ptr 0
		.amdhsa_user_sgpr_kernarg_segment_ptr 1
		.amdhsa_user_sgpr_dispatch_id 0
		.amdhsa_user_sgpr_private_segment_size 0
		.amdhsa_wavefront_size32 1
		.amdhsa_uses_dynamic_stack 0
		.amdhsa_enable_private_segment 0
		.amdhsa_system_sgpr_workgroup_id_x 1
		.amdhsa_system_sgpr_workgroup_id_y 0
		.amdhsa_system_sgpr_workgroup_id_z 0
		.amdhsa_system_sgpr_workgroup_info 0
		.amdhsa_system_vgpr_workitem_id 0
		.amdhsa_next_free_vgpr 20
		.amdhsa_next_free_sgpr 20
		.amdhsa_reserve_vcc 1
		.amdhsa_float_round_mode_32 0
		.amdhsa_float_round_mode_16_64 0
		.amdhsa_float_denorm_mode_32 3
		.amdhsa_float_denorm_mode_16_64 3
		.amdhsa_dx10_clamp 1
		.amdhsa_ieee_mode 1
		.amdhsa_fp16_overflow 0
		.amdhsa_workgroup_processor_mode 1
		.amdhsa_memory_ordered 1
		.amdhsa_forward_progress 0
		.amdhsa_shared_vgpr_count 0
		.amdhsa_exception_fp_ieee_invalid_op 0
		.amdhsa_exception_fp_denorm_src 0
		.amdhsa_exception_fp_ieee_div_zero 0
		.amdhsa_exception_fp_ieee_overflow 0
		.amdhsa_exception_fp_ieee_underflow 0
		.amdhsa_exception_fp_ieee_inexact 0
		.amdhsa_exception_int_div_zero 0
	.end_amdhsa_kernel
	.text
.Lfunc_end2:
	.size	_Z12MRCGradient3iPKiPKfS2_S2_fPfS3_, .Lfunc_end2-_Z12MRCGradient3iPKiPKfS2_S2_fPfS3_
                                        ; -- End function
	.section	.AMDGPU.csdata,"",@progbits
; Kernel info:
; codeLenInByte = 756
; NumSgprs: 22
; NumVgprs: 20
; ScratchSize: 0
; MemoryBound: 0
; FloatMode: 240
; IeeeMode: 1
; LDSByteSize: 0 bytes/workgroup (compile time only)
; SGPRBlocks: 2
; VGPRBlocks: 2
; NumSGPRsForWavesPerEU: 22
; NumVGPRsForWavesPerEU: 20
; Occupancy: 16
; WaveLimiterHint : 0
; COMPUTE_PGM_RSRC2:SCRATCH_EN: 0
; COMPUTE_PGM_RSRC2:USER_SGPR: 15
; COMPUTE_PGM_RSRC2:TRAP_HANDLER: 0
; COMPUTE_PGM_RSRC2:TGID_X_EN: 1
; COMPUTE_PGM_RSRC2:TGID_Y_EN: 0
; COMPUTE_PGM_RSRC2:TGID_Z_EN: 0
; COMPUTE_PGM_RSRC2:TIDIG_COMP_CNT: 0
	.text
	.p2alignl 7, 3214868480
	.fill 96, 4, 3214868480
	.type	__hip_cuid_c8812caab5e82fdd,@object ; @__hip_cuid_c8812caab5e82fdd
	.section	.bss,"aw",@nobits
	.globl	__hip_cuid_c8812caab5e82fdd
__hip_cuid_c8812caab5e82fdd:
	.byte	0                               ; 0x0
	.size	__hip_cuid_c8812caab5e82fdd, 1

	.ident	"AMD clang version 19.0.0git (https://github.com/RadeonOpenCompute/llvm-project roc-6.4.0 25133 c7fe45cf4b819c5991fe208aaa96edf142730f1d)"
	.section	".note.GNU-stack","",@progbits
	.addrsig
	.addrsig_sym __hip_cuid_c8812caab5e82fdd
	.amdgpu_metadata
---
amdhsa.kernels:
  - .args:
      - .offset:         0
        .size:           4
        .value_kind:     by_value
      - .address_space:  global
        .offset:         8
        .size:           8
        .value_kind:     global_buffer
      - .address_space:  global
        .offset:         16
        .size:           8
        .value_kind:     global_buffer
      - .address_space:  global
        .offset:         24
        .size:           8
        .value_kind:     global_buffer
      - .address_space:  global
        .offset:         32
        .size:           8
        .value_kind:     global_buffer
      - .offset:         40
        .size:           4
        .value_kind:     by_value
      - .actual_access:  write_only
        .address_space:  global
        .offset:         48
        .size:           8
        .value_kind:     global_buffer
      - .actual_access:  write_only
        .address_space:  global
        .offset:         56
        .size:           8
        .value_kind:     global_buffer
      - .offset:         64
        .size:           4
        .value_kind:     hidden_block_count_x
      - .offset:         68
        .size:           4
        .value_kind:     hidden_block_count_y
      - .offset:         72
        .size:           4
        .value_kind:     hidden_block_count_z
      - .offset:         76
        .size:           2
        .value_kind:     hidden_group_size_x
      - .offset:         78
        .size:           2
        .value_kind:     hidden_group_size_y
      - .offset:         80
        .size:           2
        .value_kind:     hidden_group_size_z
      - .offset:         82
        .size:           2
        .value_kind:     hidden_remainder_x
      - .offset:         84
        .size:           2
        .value_kind:     hidden_remainder_y
      - .offset:         86
        .size:           2
        .value_kind:     hidden_remainder_z
      - .offset:         104
        .size:           8
        .value_kind:     hidden_global_offset_x
      - .offset:         112
        .size:           8
        .value_kind:     hidden_global_offset_y
      - .offset:         120
        .size:           8
        .value_kind:     hidden_global_offset_z
      - .offset:         128
        .size:           2
        .value_kind:     hidden_grid_dims
    .group_segment_fixed_size: 0
    .kernarg_segment_align: 8
    .kernarg_segment_size: 320
    .language:       OpenCL C
    .language_version:
      - 2
      - 0
    .max_flat_workgroup_size: 1024
    .name:           _Z11MRCGradientiPKiPKfS2_S2_fPfS3_
    .private_segment_fixed_size: 0
    .sgpr_count:     18
    .sgpr_spill_count: 0
    .symbol:         _Z11MRCGradientiPKiPKfS2_S2_fPfS3_.kd
    .uniform_work_group_size: 1
    .uses_dynamic_stack: false
    .vgpr_count:     8
    .vgpr_spill_count: 0
    .wavefront_size: 32
    .workgroup_processor_mode: 1
  - .args:
      - .offset:         0
        .size:           4
        .value_kind:     by_value
      - .address_space:  global
        .offset:         8
        .size:           8
        .value_kind:     global_buffer
      - .address_space:  global
        .offset:         16
        .size:           8
        .value_kind:     global_buffer
      - .address_space:  global
        .offset:         24
        .size:           8
        .value_kind:     global_buffer
      - .address_space:  global
        .offset:         32
        .size:           8
        .value_kind:     global_buffer
      - .offset:         40
        .size:           4
        .value_kind:     by_value
      - .actual_access:  write_only
        .address_space:  global
        .offset:         48
        .size:           8
        .value_kind:     global_buffer
      - .actual_access:  write_only
        .address_space:  global
        .offset:         56
        .size:           8
        .value_kind:     global_buffer
      - .offset:         64
        .size:           4
        .value_kind:     hidden_block_count_x
      - .offset:         68
        .size:           4
        .value_kind:     hidden_block_count_y
      - .offset:         72
        .size:           4
        .value_kind:     hidden_block_count_z
      - .offset:         76
        .size:           2
        .value_kind:     hidden_group_size_x
      - .offset:         78
        .size:           2
        .value_kind:     hidden_group_size_y
      - .offset:         80
        .size:           2
        .value_kind:     hidden_group_size_z
      - .offset:         82
        .size:           2
        .value_kind:     hidden_remainder_x
      - .offset:         84
        .size:           2
        .value_kind:     hidden_remainder_y
      - .offset:         86
        .size:           2
        .value_kind:     hidden_remainder_z
      - .offset:         104
        .size:           8
        .value_kind:     hidden_global_offset_x
      - .offset:         112
        .size:           8
        .value_kind:     hidden_global_offset_y
      - .offset:         120
        .size:           8
        .value_kind:     hidden_global_offset_z
      - .offset:         128
        .size:           2
        .value_kind:     hidden_grid_dims
    .group_segment_fixed_size: 0
    .kernarg_segment_align: 8
    .kernarg_segment_size: 320
    .language:       OpenCL C
    .language_version:
      - 2
      - 0
    .max_flat_workgroup_size: 1024
    .name:           _Z12MRCGradient2iPKiPKfS2_S2_fPfS3_
    .private_segment_fixed_size: 0
    .sgpr_count:     18
    .sgpr_spill_count: 0
    .symbol:         _Z12MRCGradient2iPKiPKfS2_S2_fPfS3_.kd
    .uniform_work_group_size: 1
    .uses_dynamic_stack: false
    .vgpr_count:     9
    .vgpr_spill_count: 0
    .wavefront_size: 32
    .workgroup_processor_mode: 1
  - .args:
      - .offset:         0
        .size:           4
        .value_kind:     by_value
      - .address_space:  global
        .offset:         8
        .size:           8
        .value_kind:     global_buffer
      - .address_space:  global
        .offset:         16
        .size:           8
        .value_kind:     global_buffer
      - .address_space:  global
        .offset:         24
        .size:           8
        .value_kind:     global_buffer
      - .address_space:  global
        .offset:         32
        .size:           8
        .value_kind:     global_buffer
      - .offset:         40
        .size:           4
        .value_kind:     by_value
      - .actual_access:  write_only
        .address_space:  global
        .offset:         48
        .size:           8
        .value_kind:     global_buffer
      - .actual_access:  write_only
        .address_space:  global
        .offset:         56
        .size:           8
        .value_kind:     global_buffer
      - .offset:         64
        .size:           4
        .value_kind:     hidden_block_count_x
      - .offset:         68
        .size:           4
        .value_kind:     hidden_block_count_y
      - .offset:         72
        .size:           4
        .value_kind:     hidden_block_count_z
      - .offset:         76
        .size:           2
        .value_kind:     hidden_group_size_x
      - .offset:         78
        .size:           2
        .value_kind:     hidden_group_size_y
      - .offset:         80
        .size:           2
        .value_kind:     hidden_group_size_z
      - .offset:         82
        .size:           2
        .value_kind:     hidden_remainder_x
      - .offset:         84
        .size:           2
        .value_kind:     hidden_remainder_y
      - .offset:         86
        .size:           2
        .value_kind:     hidden_remainder_z
      - .offset:         104
        .size:           8
        .value_kind:     hidden_global_offset_x
      - .offset:         112
        .size:           8
        .value_kind:     hidden_global_offset_y
      - .offset:         120
        .size:           8
        .value_kind:     hidden_global_offset_z
      - .offset:         128
        .size:           2
        .value_kind:     hidden_grid_dims
    .group_segment_fixed_size: 0
    .kernarg_segment_align: 8
    .kernarg_segment_size: 320
    .language:       OpenCL C
    .language_version:
      - 2
      - 0
    .max_flat_workgroup_size: 1024
    .name:           _Z12MRCGradient3iPKiPKfS2_S2_fPfS3_
    .private_segment_fixed_size: 0
    .sgpr_count:     22
    .sgpr_spill_count: 0
    .symbol:         _Z12MRCGradient3iPKiPKfS2_S2_fPfS3_.kd
    .uniform_work_group_size: 1
    .uses_dynamic_stack: false
    .vgpr_count:     20
    .vgpr_spill_count: 0
    .wavefront_size: 32
    .workgroup_processor_mode: 1
amdhsa.target:   amdgcn-amd-amdhsa--gfx1100
amdhsa.version:
  - 1
  - 2
...

	.end_amdgpu_metadata
